;; amdgpu-corpus repo=ROCm/rocFFT kind=compiled arch=gfx906 opt=O3
	.text
	.amdgcn_target "amdgcn-amd-amdhsa--gfx906"
	.amdhsa_code_object_version 6
	.protected	fft_rtc_fwd_len1100_factors_2_2_11_5_5_wgs_110_tpt_110_dp_op_CI_CI_unitstride_sbrr_dirReg ; -- Begin function fft_rtc_fwd_len1100_factors_2_2_11_5_5_wgs_110_tpt_110_dp_op_CI_CI_unitstride_sbrr_dirReg
	.globl	fft_rtc_fwd_len1100_factors_2_2_11_5_5_wgs_110_tpt_110_dp_op_CI_CI_unitstride_sbrr_dirReg
	.p2align	8
	.type	fft_rtc_fwd_len1100_factors_2_2_11_5_5_wgs_110_tpt_110_dp_op_CI_CI_unitstride_sbrr_dirReg,@function
fft_rtc_fwd_len1100_factors_2_2_11_5_5_wgs_110_tpt_110_dp_op_CI_CI_unitstride_sbrr_dirReg: ; @fft_rtc_fwd_len1100_factors_2_2_11_5_5_wgs_110_tpt_110_dp_op_CI_CI_unitstride_sbrr_dirReg
; %bb.0:
	s_load_dwordx4 s[8:11], s[4:5], 0x58
	s_load_dwordx4 s[12:15], s[4:5], 0x0
	;; [unrolled: 1-line block ×3, first 2 shown]
	v_mul_u32_u24_e32 v1, 0x254, v0
	v_add_u32_sdwa v6, s6, v1 dst_sel:DWORD dst_unused:UNUSED_PAD src0_sel:DWORD src1_sel:WORD_1
	v_mov_b32_e32 v1, 0
	s_waitcnt lgkmcnt(0)
	v_cmp_lt_u64_e64 s[0:1], s[14:15], 2
	v_mov_b32_e32 v4, 0
	v_mov_b32_e32 v7, v1
	s_and_b64 vcc, exec, s[0:1]
	v_mov_b32_e32 v5, 0
	s_cbranch_vccnz .LBB0_8
; %bb.1:
	s_load_dwordx2 s[0:1], s[4:5], 0x10
	s_add_u32 s2, s18, 8
	s_addc_u32 s3, s19, 0
	s_add_u32 s6, s16, 8
	v_mov_b32_e32 v4, 0
	s_addc_u32 s7, s17, 0
	v_mov_b32_e32 v5, 0
	s_waitcnt lgkmcnt(0)
	s_add_u32 s20, s0, 8
	v_mov_b32_e32 v45, v5
	s_addc_u32 s21, s1, 0
	s_mov_b64 s[22:23], 1
	v_mov_b32_e32 v44, v4
.LBB0_2:                                ; =>This Inner Loop Header: Depth=1
	s_load_dwordx2 s[24:25], s[20:21], 0x0
                                        ; implicit-def: $vgpr46_vgpr47
	s_waitcnt lgkmcnt(0)
	v_or_b32_e32 v2, s25, v7
	v_cmp_ne_u64_e32 vcc, 0, v[1:2]
	s_and_saveexec_b64 s[0:1], vcc
	s_xor_b64 s[26:27], exec, s[0:1]
	s_cbranch_execz .LBB0_4
; %bb.3:                                ;   in Loop: Header=BB0_2 Depth=1
	v_cvt_f32_u32_e32 v2, s24
	v_cvt_f32_u32_e32 v3, s25
	s_sub_u32 s0, 0, s24
	s_subb_u32 s1, 0, s25
	v_mac_f32_e32 v2, 0x4f800000, v3
	v_rcp_f32_e32 v2, v2
	v_mul_f32_e32 v2, 0x5f7ffffc, v2
	v_mul_f32_e32 v3, 0x2f800000, v2
	v_trunc_f32_e32 v3, v3
	v_mac_f32_e32 v2, 0xcf800000, v3
	v_cvt_u32_f32_e32 v3, v3
	v_cvt_u32_f32_e32 v2, v2
	v_mul_lo_u32 v8, s0, v3
	v_mul_hi_u32 v9, s0, v2
	v_mul_lo_u32 v11, s1, v2
	v_mul_lo_u32 v10, s0, v2
	v_add_u32_e32 v8, v9, v8
	v_add_u32_e32 v8, v8, v11
	v_mul_hi_u32 v9, v2, v10
	v_mul_lo_u32 v11, v2, v8
	v_mul_hi_u32 v13, v2, v8
	v_mul_hi_u32 v12, v3, v10
	v_mul_lo_u32 v10, v3, v10
	v_mul_hi_u32 v14, v3, v8
	v_add_co_u32_e32 v9, vcc, v9, v11
	v_addc_co_u32_e32 v11, vcc, 0, v13, vcc
	v_mul_lo_u32 v8, v3, v8
	v_add_co_u32_e32 v9, vcc, v9, v10
	v_addc_co_u32_e32 v9, vcc, v11, v12, vcc
	v_addc_co_u32_e32 v10, vcc, 0, v14, vcc
	v_add_co_u32_e32 v8, vcc, v9, v8
	v_addc_co_u32_e32 v9, vcc, 0, v10, vcc
	v_add_co_u32_e32 v2, vcc, v2, v8
	v_addc_co_u32_e32 v3, vcc, v3, v9, vcc
	v_mul_lo_u32 v8, s0, v3
	v_mul_hi_u32 v9, s0, v2
	v_mul_lo_u32 v10, s1, v2
	v_mul_lo_u32 v11, s0, v2
	v_add_u32_e32 v8, v9, v8
	v_add_u32_e32 v8, v8, v10
	v_mul_lo_u32 v12, v2, v8
	v_mul_hi_u32 v13, v2, v11
	v_mul_hi_u32 v14, v2, v8
	v_mul_hi_u32 v10, v3, v11
	v_mul_lo_u32 v11, v3, v11
	v_mul_hi_u32 v9, v3, v8
	v_add_co_u32_e32 v12, vcc, v13, v12
	v_addc_co_u32_e32 v13, vcc, 0, v14, vcc
	v_mul_lo_u32 v8, v3, v8
	v_add_co_u32_e32 v11, vcc, v12, v11
	v_addc_co_u32_e32 v10, vcc, v13, v10, vcc
	v_addc_co_u32_e32 v9, vcc, 0, v9, vcc
	v_add_co_u32_e32 v8, vcc, v10, v8
	v_addc_co_u32_e32 v9, vcc, 0, v9, vcc
	v_add_co_u32_e32 v8, vcc, v2, v8
	v_addc_co_u32_e32 v9, vcc, v3, v9, vcc
	v_mad_u64_u32 v[2:3], s[0:1], v6, v9, 0
	v_mul_hi_u32 v10, v6, v8
	v_add_co_u32_e32 v10, vcc, v10, v2
	v_addc_co_u32_e32 v11, vcc, 0, v3, vcc
	v_mad_u64_u32 v[2:3], s[0:1], v7, v8, 0
	v_mad_u64_u32 v[8:9], s[0:1], v7, v9, 0
	v_add_co_u32_e32 v2, vcc, v10, v2
	v_addc_co_u32_e32 v2, vcc, v11, v3, vcc
	v_addc_co_u32_e32 v3, vcc, 0, v9, vcc
	v_add_co_u32_e32 v8, vcc, v2, v8
	v_addc_co_u32_e32 v9, vcc, 0, v3, vcc
	v_mul_lo_u32 v10, s25, v8
	v_mul_lo_u32 v11, s24, v9
	v_mad_u64_u32 v[2:3], s[0:1], s24, v8, 0
	v_add3_u32 v3, v3, v11, v10
	v_sub_u32_e32 v10, v7, v3
	v_mov_b32_e32 v11, s25
	v_sub_co_u32_e32 v2, vcc, v6, v2
	v_subb_co_u32_e64 v10, s[0:1], v10, v11, vcc
	v_subrev_co_u32_e64 v11, s[0:1], s24, v2
	v_subbrev_co_u32_e64 v10, s[0:1], 0, v10, s[0:1]
	v_cmp_le_u32_e64 s[0:1], s25, v10
	v_cndmask_b32_e64 v12, 0, -1, s[0:1]
	v_cmp_le_u32_e64 s[0:1], s24, v11
	v_cndmask_b32_e64 v11, 0, -1, s[0:1]
	v_cmp_eq_u32_e64 s[0:1], s25, v10
	v_cndmask_b32_e64 v10, v12, v11, s[0:1]
	v_add_co_u32_e64 v11, s[0:1], 2, v8
	v_addc_co_u32_e64 v12, s[0:1], 0, v9, s[0:1]
	v_add_co_u32_e64 v13, s[0:1], 1, v8
	v_addc_co_u32_e64 v14, s[0:1], 0, v9, s[0:1]
	v_subb_co_u32_e32 v3, vcc, v7, v3, vcc
	v_cmp_ne_u32_e64 s[0:1], 0, v10
	v_cmp_le_u32_e32 vcc, s25, v3
	v_cndmask_b32_e64 v10, v14, v12, s[0:1]
	v_cndmask_b32_e64 v12, 0, -1, vcc
	v_cmp_le_u32_e32 vcc, s24, v2
	v_cndmask_b32_e64 v2, 0, -1, vcc
	v_cmp_eq_u32_e32 vcc, s25, v3
	v_cndmask_b32_e32 v2, v12, v2, vcc
	v_cmp_ne_u32_e32 vcc, 0, v2
	v_cndmask_b32_e64 v2, v13, v11, s[0:1]
	v_cndmask_b32_e32 v47, v9, v10, vcc
	v_cndmask_b32_e32 v46, v8, v2, vcc
.LBB0_4:                                ;   in Loop: Header=BB0_2 Depth=1
	s_andn2_saveexec_b64 s[0:1], s[26:27]
	s_cbranch_execz .LBB0_6
; %bb.5:                                ;   in Loop: Header=BB0_2 Depth=1
	v_cvt_f32_u32_e32 v2, s24
	s_sub_i32 s26, 0, s24
	v_mov_b32_e32 v47, v1
	v_rcp_iflag_f32_e32 v2, v2
	v_mul_f32_e32 v2, 0x4f7ffffe, v2
	v_cvt_u32_f32_e32 v2, v2
	v_mul_lo_u32 v3, s26, v2
	v_mul_hi_u32 v3, v2, v3
	v_add_u32_e32 v2, v2, v3
	v_mul_hi_u32 v2, v6, v2
	v_mul_lo_u32 v3, v2, s24
	v_add_u32_e32 v8, 1, v2
	v_sub_u32_e32 v3, v6, v3
	v_subrev_u32_e32 v9, s24, v3
	v_cmp_le_u32_e32 vcc, s24, v3
	v_cndmask_b32_e32 v3, v3, v9, vcc
	v_cndmask_b32_e32 v2, v2, v8, vcc
	v_add_u32_e32 v8, 1, v2
	v_cmp_le_u32_e32 vcc, s24, v3
	v_cndmask_b32_e32 v46, v2, v8, vcc
.LBB0_6:                                ;   in Loop: Header=BB0_2 Depth=1
	s_or_b64 exec, exec, s[0:1]
	v_mul_lo_u32 v8, v47, s24
	v_mul_lo_u32 v9, v46, s25
	v_mad_u64_u32 v[2:3], s[0:1], v46, s24, 0
	s_load_dwordx2 s[0:1], s[6:7], 0x0
	s_load_dwordx2 s[24:25], s[2:3], 0x0
	v_add3_u32 v3, v3, v9, v8
	v_sub_co_u32_e32 v2, vcc, v6, v2
	v_subb_co_u32_e32 v3, vcc, v7, v3, vcc
	s_waitcnt lgkmcnt(0)
	v_mul_lo_u32 v6, s0, v3
	v_mul_lo_u32 v7, s1, v2
	v_mad_u64_u32 v[4:5], s[0:1], s0, v2, v[4:5]
	v_mul_lo_u32 v3, s24, v3
	v_mul_lo_u32 v8, s25, v2
	v_mad_u64_u32 v[44:45], s[0:1], s24, v2, v[44:45]
	s_add_u32 s22, s22, 1
	s_addc_u32 s23, s23, 0
	s_add_u32 s2, s2, 8
	v_add3_u32 v45, v8, v45, v3
	s_addc_u32 s3, s3, 0
	v_mov_b32_e32 v2, s14
	s_add_u32 s6, s6, 8
	v_mov_b32_e32 v3, s15
	s_addc_u32 s7, s7, 0
	v_cmp_ge_u64_e32 vcc, s[22:23], v[2:3]
	s_add_u32 s20, s20, 8
	v_add3_u32 v5, v7, v5, v6
	s_addc_u32 s21, s21, 0
	s_cbranch_vccnz .LBB0_9
; %bb.7:                                ;   in Loop: Header=BB0_2 Depth=1
	v_mov_b32_e32 v6, v46
	v_mov_b32_e32 v7, v47
	s_branch .LBB0_2
.LBB0_8:
	v_mov_b32_e32 v45, v5
	v_mov_b32_e32 v47, v7
	;; [unrolled: 1-line block ×4, first 2 shown]
.LBB0_9:
	s_load_dwordx2 s[0:1], s[4:5], 0x28
	s_lshl_b64 s[6:7], s[14:15], 3
	s_add_u32 s2, s18, s6
	s_addc_u32 s3, s19, s7
                                        ; implicit-def: $vgpr96
	s_waitcnt lgkmcnt(0)
	v_cmp_gt_u64_e32 vcc, s[0:1], v[46:47]
	v_cmp_le_u64_e64 s[0:1], s[0:1], v[46:47]
	s_and_saveexec_b64 s[4:5], s[0:1]
	s_xor_b64 s[0:1], exec, s[4:5]
; %bb.10:
	s_mov_b32 s4, 0x253c826
	v_mul_hi_u32 v1, v0, s4
                                        ; implicit-def: $vgpr4_vgpr5
	v_mul_u32_u24_e32 v1, 0x6e, v1
	v_sub_u32_e32 v96, v0, v1
                                        ; implicit-def: $vgpr0
; %bb.11:
	s_or_saveexec_b64 s[4:5], s[0:1]
                                        ; implicit-def: $vgpr22_vgpr23
                                        ; implicit-def: $vgpr14_vgpr15
                                        ; implicit-def: $vgpr26_vgpr27
                                        ; implicit-def: $vgpr10_vgpr11
                                        ; implicit-def: $vgpr30_vgpr31
                                        ; implicit-def: $vgpr18_vgpr19
                                        ; implicit-def: $vgpr34_vgpr35
                                        ; implicit-def: $vgpr2_vgpr3
                                        ; implicit-def: $vgpr38_vgpr39
                                        ; implicit-def: $vgpr6_vgpr7
	s_xor_b64 exec, exec, s[4:5]
	s_cbranch_execz .LBB0_13
; %bb.12:
	s_add_u32 s0, s16, s6
	s_addc_u32 s1, s17, s7
	s_load_dwordx2 s[0:1], s[0:1], 0x0
	s_mov_b32 s6, 0x253c826
	v_mul_hi_u32 v3, v0, s6
	s_waitcnt lgkmcnt(0)
	v_mul_lo_u32 v6, s1, v46
	v_mul_lo_u32 v7, s0, v47
	v_mad_u64_u32 v[1:2], s[0:1], s0, v46, 0
	v_mul_u32_u24_e32 v3, 0x6e, v3
	v_sub_u32_e32 v96, v0, v3
	v_add3_u32 v2, v2, v7, v6
	v_lshlrev_b64 v[0:1], 4, v[1:2]
	v_mov_b32_e32 v2, s9
	v_add_co_u32_e64 v3, s[0:1], s8, v0
	v_addc_co_u32_e64 v2, s[0:1], v2, v1, s[0:1]
	v_lshlrev_b64 v[0:1], 4, v[4:5]
	v_add_co_u32_e64 v0, s[0:1], v3, v0
	v_addc_co_u32_e64 v1, s[0:1], v2, v1, s[0:1]
	v_lshlrev_b32_e32 v2, 4, v96
	v_add_co_u32_e64 v40, s[0:1], v0, v2
	v_addc_co_u32_e64 v41, s[0:1], 0, v1, s[0:1]
	s_movk_i32 s0, 0x2000
	v_add_co_u32_e64 v42, s[0:1], s0, v40
	v_addc_co_u32_e64 v43, s[0:1], 0, v41, s[0:1]
	s_movk_i32 s0, 0x3000
	;; [unrolled: 3-line block ×3, first 2 shown]
	v_add_co_u32_e64 v50, s[0:1], s0, v40
	v_addc_co_u32_e64 v51, s[0:1], 0, v41, s[0:1]
	global_load_dwordx4 v[4:7], v[40:41], off
	global_load_dwordx4 v[0:3], v[40:41], off offset:1760
	global_load_dwordx4 v[8:11], v[50:51], off offset:1184
	;; [unrolled: 1-line block ×9, first 2 shown]
.LBB0_13:
	s_or_b64 exec, exec, s[4:5]
	s_waitcnt vmcnt(4)
	v_add_f64 v[36:37], v[4:5], -v[36:37]
	v_add_f64 v[38:39], v[6:7], -v[38:39]
	s_waitcnt vmcnt(3)
	v_add_f64 v[32:33], v[0:1], -v[32:33]
	v_add_f64 v[34:35], v[2:3], -v[34:35]
	;; [unrolled: 3-line block ×5, first 2 shown]
	v_fma_f64 v[4:5], v[4:5], 2.0, -v[36:37]
	v_fma_f64 v[6:7], v[6:7], 2.0, -v[38:39]
	;; [unrolled: 1-line block ×10, first 2 shown]
	v_lshl_add_u32 v40, v96, 5, 0
	v_add_u32_e32 v97, 0x6e, v96
	s_load_dwordx2 s[2:3], s[2:3], 0x0
	ds_write_b128 v40, v[4:7]
	ds_write_b128 v40, v[36:39] offset:16
	v_lshl_add_u32 v4, v97, 5, 0
	ds_write_b128 v4, v[0:3]
	ds_write_b128 v4, v[32:35] offset:16
	v_add_u32_e32 v4, 0xdc, v96
	v_lshl_add_u32 v0, v4, 5, 0
	v_add_u32_e32 v5, 0x14a, v96
	ds_write_b128 v0, v[16:19]
	ds_write_b128 v0, v[28:31] offset:16
	v_lshl_add_u32 v0, v5, 5, 0
	v_add_u32_e32 v6, 0x1b8, v96
	ds_write_b128 v0, v[8:11]
	ds_write_b128 v0, v[24:27] offset:16
	v_lshl_add_u32 v0, v6, 5, 0
	v_and_b32_e32 v7, 1, v96
	ds_write_b128 v0, v[12:15]
	ds_write_b128 v0, v[20:23] offset:16
	v_lshlrev_b32_e32 v0, 4, v7
	s_waitcnt lgkmcnt(0)
	s_barrier
	global_load_dwordx4 v[0:3], v0, s[12:13]
	v_lshlrev_b32_e32 v8, 4, v96
	s_movk_i32 s0, 0xfc
	v_lshlrev_b32_e32 v9, 1, v96
	s_movk_i32 s1, 0x1fc
	s_movk_i32 s4, 0x3fc
	;; [unrolled: 1-line block ×3, first 2 shown]
	v_sub_u32_e32 v98, v40, v8
	v_lshlrev_b32_e32 v4, 1, v4
	v_lshlrev_b32_e32 v5, 1, v5
	v_lshlrev_b32_e32 v6, 1, v6
	v_and_or_b32 v8, v9, s0, v7
	v_lshlrev_b32_e32 v9, 1, v97
	v_and_or_b32 v9, v9, s1, v7
	v_and_or_b32 v4, v4, s4, v7
	;; [unrolled: 1-line block ×4, first 2 shown]
	v_lshl_add_u32 v66, v8, 4, 0
	v_lshl_add_u32 v67, v9, 4, 0
	v_lshl_add_u32 v68, v4, 4, 0
	v_lshl_add_u32 v69, v5, 4, 0
	v_lshl_add_u32 v70, v6, 4, 0
	ds_read_b128 v[4:7], v98 offset:8800
	ds_read_b128 v[32:35], v98 offset:7040
	;; [unrolled: 1-line block ×6, first 2 shown]
	ds_read_b128 v[28:31], v98
	ds_read_b128 v[40:43], v98 offset:1760
	ds_read_b128 v[48:51], v98 offset:3520
	;; [unrolled: 1-line block ×3, first 2 shown]
	s_movk_i32 s0, 0x64
	v_cmp_gt_u32_e64 s[0:1], s0, v96
	s_waitcnt vmcnt(0) lgkmcnt(0)
	s_barrier
	v_mul_f64 v[24:25], v[6:7], v[2:3]
	v_mul_f64 v[26:27], v[4:5], v[2:3]
	;; [unrolled: 1-line block ×10, first 2 shown]
	v_fma_f64 v[4:5], v[4:5], v[0:1], -v[24:25]
	v_fma_f64 v[6:7], v[6:7], v[0:1], v[26:27]
	v_fma_f64 v[8:9], v[8:9], v[0:1], -v[36:37]
	v_fma_f64 v[10:11], v[10:11], v[0:1], v[38:39]
	;; [unrolled: 2-line block ×5, first 2 shown]
	v_add_f64 v[4:5], v[28:29], -v[4:5]
	v_add_f64 v[6:7], v[30:31], -v[6:7]
	;; [unrolled: 1-line block ×10, first 2 shown]
	v_fma_f64 v[0:1], v[28:29], 2.0, -v[4:5]
	v_fma_f64 v[2:3], v[30:31], 2.0, -v[6:7]
	;; [unrolled: 1-line block ×10, first 2 shown]
	ds_write_b128 v66, v[4:7] offset:32
	ds_write_b128 v66, v[0:3]
	ds_write_b128 v67, v[12:15]
	ds_write_b128 v67, v[8:11] offset:32
	ds_write_b128 v68, v[16:19]
	ds_write_b128 v68, v[20:23] offset:32
	;; [unrolled: 2-line block ×4, first 2 shown]
	s_waitcnt lgkmcnt(0)
	s_barrier
	s_waitcnt lgkmcnt(0)
                                        ; implicit-def: $vgpr42_vgpr43
	s_and_saveexec_b64 s[4:5], s[0:1]
	s_cbranch_execz .LBB0_15
; %bb.14:
	ds_read_b128 v[0:3], v98
	ds_read_b128 v[4:7], v98 offset:1600
	ds_read_b128 v[12:15], v98 offset:3200
	ds_read_b128 v[8:11], v98 offset:4800
	ds_read_b128 v[16:19], v98 offset:6400
	ds_read_b128 v[20:23], v98 offset:8000
	ds_read_b128 v[28:31], v98 offset:9600
	ds_read_b128 v[24:27], v98 offset:11200
	ds_read_b128 v[32:35], v98 offset:12800
	ds_read_b128 v[36:39], v98 offset:14400
	ds_read_b128 v[40:43], v98 offset:16000
.LBB0_15:
	s_or_b64 exec, exec, s[4:5]
	s_waitcnt lgkmcnt(0)
	s_barrier
	s_and_saveexec_b64 s[4:5], s[0:1]
	s_cbranch_execz .LBB0_17
; %bb.16:
	v_and_b32_e32 v99, 3, v96
	v_mul_u32_u24_e32 v48, 10, v99
	v_lshlrev_b32_e32 v52, 4, v48
	global_load_dwordx4 v[48:51], v52, s[12:13] offset:96
	global_load_dwordx4 v[56:59], v52, s[12:13] offset:112
	;; [unrolled: 1-line block ×10, first 2 shown]
	s_mov_b32 s0, 0x9bcd5057
	s_mov_b32 s1, 0xbfeeb42a
	;; [unrolled: 1-line block ×30, first 2 shown]
	s_waitcnt vmcnt(9)
	v_mul_f64 v[52:53], v[20:21], v[50:51]
	v_mul_f64 v[50:51], v[22:23], v[50:51]
	s_waitcnt vmcnt(8)
	v_mul_f64 v[76:77], v[28:29], v[58:59]
	s_waitcnt vmcnt(6)
	v_mul_f64 v[92:93], v[24:25], v[66:67]
	v_mul_f64 v[58:59], v[30:31], v[58:59]
	;; [unrolled: 1-line block ×3, first 2 shown]
	s_waitcnt vmcnt(3)
	v_mul_f64 v[108:109], v[12:13], v[74:75]
	v_mul_f64 v[74:75], v[14:15], v[74:75]
	s_waitcnt vmcnt(2)
	v_mul_f64 v[110:111], v[4:5], v[86:87]
	s_waitcnt vmcnt(1)
	v_mul_f64 v[112:113], v[40:41], v[90:91]
	v_mul_f64 v[62:63], v[18:19], v[62:63]
	;; [unrolled: 1-line block ×5, first 2 shown]
	s_waitcnt vmcnt(0)
	v_mul_f64 v[114:115], v[36:37], v[102:103]
	v_fma_f64 v[26:27], v[26:27], v[64:65], v[92:93]
	v_fma_f64 v[74:75], v[12:13], v[72:73], -v[74:75]
	v_fma_f64 v[92:93], v[6:7], v[84:85], v[110:111]
	v_fma_f64 v[12:13], v[42:43], v[88:89], v[112:113]
	v_mul_f64 v[104:105], v[8:9], v[70:71]
	v_mul_f64 v[106:107], v[32:33], v[80:81]
	;; [unrolled: 1-line block ×4, first 2 shown]
	v_fma_f64 v[52:53], v[22:23], v[48:49], v[52:53]
	v_fma_f64 v[54:55], v[20:21], v[48:49], -v[50:51]
	v_fma_f64 v[48:49], v[30:31], v[56:57], v[76:77]
	v_fma_f64 v[50:51], v[28:29], v[56:57], -v[58:59]
	;; [unrolled: 2-line block ×3, first 2 shown]
	v_fma_f64 v[24:25], v[24:25], v[64:65], -v[94:95]
	v_fma_f64 v[82:83], v[14:15], v[72:73], v[108:109]
	v_fma_f64 v[84:85], v[4:5], v[84:85], -v[86:87]
	v_fma_f64 v[14:15], v[40:41], v[88:89], -v[90:91]
	v_fma_f64 v[16:17], v[38:39], v[100:101], v[114:115]
	v_add_f64 v[94:95], v[92:93], v[12:13]
	v_mul_f64 v[70:71], v[10:11], v[70:71]
	v_fma_f64 v[18:19], v[36:37], v[100:101], -v[102:103]
	v_fma_f64 v[76:77], v[10:11], v[68:69], v[104:105]
	v_fma_f64 v[20:21], v[34:35], v[78:79], v[106:107]
	v_fma_f64 v[22:23], v[32:33], v[78:79], -v[80:81]
	v_add_f64 v[78:79], v[84:85], -v[14:15]
	v_add_f64 v[90:91], v[82:83], v[16:17]
	v_add_f64 v[86:87], v[92:93], -v[12:13]
	v_mul_f64 v[4:5], v[94:95], s[0:1]
	v_fma_f64 v[72:73], v[8:9], v[68:69], -v[70:71]
	v_add_f64 v[60:61], v[74:75], -v[18:19]
	v_add_f64 v[68:69], v[84:85], v[14:15]
	v_add_f64 v[70:71], v[82:83], -v[16:17]
	v_add_f64 v[88:89], v[76:77], v[20:21]
	v_mul_f64 v[8:9], v[90:91], s[14:15]
	v_mul_f64 v[6:7], v[86:87], s[8:9]
	v_fma_f64 v[116:117], v[78:79], s[6:7], v[4:5]
	v_add_f64 v[62:63], v[74:75], v[18:19]
	v_add_f64 v[58:59], v[72:73], -v[22:23]
	v_add_f64 v[64:65], v[76:77], -v[20:21]
	v_add_f64 v[80:81], v[66:67], v[26:27]
	v_mul_f64 v[10:11], v[70:71], s[22:23]
	v_mul_f64 v[100:101], v[88:89], s[16:17]
	v_fma_f64 v[118:119], v[68:69], s[0:1], v[6:7]
	v_fma_f64 v[4:5], v[78:79], s[8:9], v[4:5]
	;; [unrolled: 1-line block ×3, first 2 shown]
	v_fma_f64 v[6:7], v[68:69], s[0:1], -v[6:7]
	v_add_f64 v[116:117], v[2:3], v[116:117]
	v_add_f64 v[42:43], v[72:73], v[22:23]
	v_add_f64 v[38:39], v[56:57], -v[24:25]
	v_add_f64 v[40:41], v[66:67], -v[26:27]
	v_add_f64 v[36:37], v[52:53], v[48:49]
	v_mul_f64 v[102:103], v[64:65], s[20:21]
	v_mul_f64 v[104:105], v[80:81], s[24:25]
	v_fma_f64 v[124:125], v[62:63], s[14:15], v[10:11]
	v_fma_f64 v[8:9], v[60:61], s[22:23], v[8:9]
	v_add_f64 v[118:119], v[0:1], v[118:119]
	v_fma_f64 v[10:11], v[62:63], s[14:15], -v[10:11]
	v_fma_f64 v[126:127], v[58:59], s[26:27], v[100:101]
	v_add_f64 v[4:5], v[2:3], v[4:5]
	v_add_f64 v[6:7], v[0:1], v[6:7]
	;; [unrolled: 1-line block ×4, first 2 shown]
	v_add_f64 v[28:29], v[54:55], -v[50:51]
	v_add_f64 v[34:35], v[52:53], -v[48:49]
	v_mul_f64 v[106:107], v[40:41], s[38:39]
	v_mul_f64 v[108:109], v[36:37], s[30:31]
	v_mul_f64 v[112:113], v[94:95], s[16:17]
	v_fma_f64 v[128:129], v[42:43], s[16:17], v[102:103]
	v_fma_f64 v[100:101], v[58:59], s[20:21], v[100:101]
	v_add_f64 v[118:119], v[124:125], v[118:119]
	v_fma_f64 v[122:123], v[38:39], s[28:29], v[104:105]
	v_fma_f64 v[102:103], v[42:43], s[16:17], -v[102:103]
	v_add_f64 v[4:5], v[8:9], v[4:5]
	v_add_f64 v[6:7], v[10:11], v[6:7]
	;; [unrolled: 1-line block ×4, first 2 shown]
	v_mul_f64 v[110:111], v[34:35], s[34:35]
	v_mul_f64 v[114:115], v[90:91], s[30:31]
	;; [unrolled: 1-line block ×3, first 2 shown]
	v_fma_f64 v[124:125], v[32:33], s[24:25], v[106:107]
	v_fma_f64 v[8:9], v[28:29], s[36:37], v[108:109]
	v_add_f64 v[116:117], v[128:129], v[118:119]
	v_fma_f64 v[104:105], v[38:39], s[38:39], v[104:105]
	v_fma_f64 v[118:119], v[78:79], s[26:27], v[112:113]
	v_fma_f64 v[106:107], v[32:33], s[24:25], -v[106:107]
	v_add_f64 v[4:5], v[100:101], v[4:5]
	v_add_f64 v[6:7], v[102:103], v[6:7]
	;; [unrolled: 1-line block ×3, first 2 shown]
	v_fma_f64 v[100:101], v[30:31], s[30:31], v[110:111]
	v_add_f64 v[102:103], v[124:125], v[116:117]
	v_fma_f64 v[122:123], v[60:61], s[34:35], v[114:115]
	v_add_f64 v[118:119], v[2:3], v[118:119]
	;; [unrolled: 2-line block ×3, first 2 shown]
	v_add_f64 v[106:107], v[106:107], v[6:7]
	v_mul_f64 v[126:127], v[70:71], s[36:37]
	v_add_f64 v[6:7], v[8:9], v[10:11]
	v_fma_f64 v[8:9], v[28:29], s[34:35], v[108:109]
	v_mul_f64 v[116:117], v[88:89], s[14:15]
	v_add_f64 v[4:5], v[100:101], v[102:103]
	v_add_f64 v[100:101], v[122:123], v[118:119]
	;; [unrolled: 1-line block ×3, first 2 shown]
	v_fma_f64 v[110:111], v[30:31], s[30:31], -v[110:111]
	v_fma_f64 v[122:123], v[62:63], s[30:31], v[126:127]
	v_mul_f64 v[108:109], v[80:81], s[0:1]
	v_add_f64 v[10:11], v[8:9], v[104:105]
	v_fma_f64 v[8:9], v[78:79], s[20:21], v[112:113]
	v_fma_f64 v[104:105], v[68:69], s[16:17], -v[120:121]
	v_fma_f64 v[102:103], v[58:59], s[22:23], v[116:117]
	v_mul_f64 v[124:125], v[64:65], s[18:19]
	v_fma_f64 v[114:115], v[60:61], s[36:37], v[114:115]
	v_add_f64 v[112:113], v[122:123], v[118:119]
	v_mul_f64 v[120:121], v[40:41], s[8:9]
	v_fma_f64 v[116:117], v[58:59], s[18:19], v[116:117]
	v_add_f64 v[122:123], v[2:3], v[8:9]
	v_add_f64 v[8:9], v[110:111], v[106:107]
	v_fma_f64 v[106:107], v[62:63], s[30:31], -v[126:127]
	v_add_f64 v[104:105], v[0:1], v[104:105]
	v_mul_f64 v[110:111], v[94:95], s[30:31]
	v_add_f64 v[100:101], v[102:103], v[100:101]
	v_fma_f64 v[102:103], v[38:39], s[6:7], v[108:109]
	v_fma_f64 v[118:119], v[42:43], s[14:15], v[124:125]
	v_add_f64 v[114:115], v[114:115], v[122:123]
	v_mul_f64 v[122:123], v[90:91], s[0:1]
	v_mul_f64 v[126:127], v[86:87], s[34:35]
	v_add_f64 v[104:105], v[106:107], v[104:105]
	v_fma_f64 v[106:107], v[78:79], s[36:37], v[110:111]
	v_mul_f64 v[128:129], v[34:35], s[38:39]
	v_add_f64 v[100:101], v[102:103], v[100:101]
	v_add_f64 v[102:103], v[118:119], v[112:113]
	v_fma_f64 v[112:113], v[32:33], s[0:1], v[120:121]
	v_mul_f64 v[118:119], v[36:37], s[24:25]
	v_fma_f64 v[124:125], v[42:43], s[14:15], -v[124:125]
	v_add_f64 v[114:115], v[116:117], v[114:115]
	v_add_f64 v[106:107], v[2:3], v[106:107]
	v_fma_f64 v[116:117], v[60:61], s[8:9], v[122:123]
	v_fma_f64 v[130:131], v[68:69], s[30:31], v[126:127]
	v_mul_f64 v[132:133], v[70:71], s[6:7]
	v_mul_f64 v[136:137], v[88:89], s[24:25]
	v_add_f64 v[112:113], v[112:113], v[102:103]
	v_fma_f64 v[102:103], v[28:29], s[28:29], v[118:119]
	v_fma_f64 v[134:135], v[30:31], s[24:25], v[128:129]
	v_add_f64 v[104:105], v[124:125], v[104:105]
	v_fma_f64 v[108:109], v[38:39], s[8:9], v[108:109]
	v_fma_f64 v[120:121], v[32:33], s[0:1], -v[120:121]
	v_add_f64 v[106:107], v[116:117], v[106:107]
	v_add_f64 v[116:117], v[0:1], v[130:131]
	v_fma_f64 v[124:125], v[62:63], s[0:1], v[132:133]
	v_mul_f64 v[130:131], v[64:65], s[38:39]
	v_fma_f64 v[138:139], v[58:59], s[28:29], v[136:137]
	v_mul_f64 v[140:141], v[80:81], s[14:15]
	v_add_f64 v[102:103], v[102:103], v[100:101]
	v_add_f64 v[100:101], v[134:135], v[112:113]
	;; [unrolled: 1-line block ×3, first 2 shown]
	v_fma_f64 v[112:113], v[28:29], s[38:39], v[118:119]
	v_add_f64 v[114:115], v[124:125], v[116:117]
	v_fma_f64 v[116:117], v[42:43], s[24:25], v[130:131]
	v_add_f64 v[118:119], v[138:139], v[106:107]
	v_mul_f64 v[124:125], v[40:41], s[18:19]
	v_fma_f64 v[134:135], v[38:39], s[22:23], v[140:141]
	v_add_f64 v[104:105], v[120:121], v[104:105]
	v_mul_f64 v[120:121], v[36:37], s[16:17]
	v_fma_f64 v[128:129], v[30:31], s[24:25], -v[128:129]
	v_fma_f64 v[110:111], v[78:79], s[34:35], v[110:111]
	v_add_f64 v[106:107], v[112:113], v[108:109]
	v_add_f64 v[108:109], v[116:117], v[114:115]
	v_fma_f64 v[112:113], v[32:33], s[14:15], v[124:125]
	v_add_f64 v[114:115], v[134:135], v[118:119]
	v_fma_f64 v[116:117], v[68:69], s[30:31], -v[126:127]
	v_fma_f64 v[118:119], v[28:29], s[26:27], v[120:121]
	v_mul_f64 v[126:127], v[94:95], s[24:25]
	v_add_f64 v[104:105], v[128:129], v[104:105]
	v_fma_f64 v[122:123], v[60:61], s[6:7], v[122:123]
	v_add_f64 v[128:129], v[2:3], v[110:111]
	v_add_f64 v[108:109], v[112:113], v[108:109]
	v_fma_f64 v[112:113], v[62:63], s[0:1], -v[132:133]
	v_add_f64 v[116:117], v[0:1], v[116:117]
	v_add_f64 v[110:111], v[118:119], v[114:115]
	v_fma_f64 v[114:115], v[78:79], s[38:39], v[126:127]
	v_mul_f64 v[118:119], v[90:91], s[16:17]
	v_fma_f64 v[134:135], v[58:59], s[38:39], v[136:137]
	v_add_f64 v[122:123], v[122:123], v[128:129]
	v_mul_f64 v[128:129], v[86:87], s[28:29]
	v_mul_f64 v[132:133], v[34:35], s[20:21]
	v_add_f64 v[112:113], v[112:113], v[116:117]
	v_fma_f64 v[116:117], v[42:43], s[24:25], -v[130:131]
	v_add_f64 v[114:115], v[2:3], v[114:115]
	v_fma_f64 v[130:131], v[60:61], s[26:27], v[118:119]
	v_mul_f64 v[136:137], v[88:89], s[0:1]
	v_mul_f64 v[144:145], v[70:71], s[20:21]
	v_fma_f64 v[142:143], v[68:69], s[24:25], v[128:129]
	v_add_f64 v[122:123], v[134:135], v[122:123]
	v_fma_f64 v[134:135], v[38:39], s[18:19], v[140:141]
	v_fma_f64 v[138:139], v[30:31], s[16:17], v[132:133]
	v_add_f64 v[112:113], v[116:117], v[112:113]
	v_add_f64 v[114:115], v[130:131], v[114:115]
	v_fma_f64 v[116:117], v[58:59], s[8:9], v[136:137]
	v_mul_f64 v[130:131], v[80:81], s[30:31]
	v_add_f64 v[140:141], v[0:1], v[142:143]
	v_fma_f64 v[142:143], v[62:63], s[16:17], v[144:145]
	v_mul_f64 v[146:147], v[64:65], s[6:7]
	v_add_f64 v[122:123], v[134:135], v[122:123]
	v_fma_f64 v[120:121], v[28:29], s[20:21], v[120:121]
	v_add_f64 v[108:109], v[138:139], v[108:109]
	v_add_f64 v[116:117], v[116:117], v[114:115]
	v_fma_f64 v[134:135], v[38:39], s[34:35], v[130:131]
	v_fma_f64 v[118:119], v[60:61], s[20:21], v[118:119]
	v_add_f64 v[138:139], v[142:143], v[140:141]
	v_fma_f64 v[140:141], v[42:43], s[0:1], v[146:147]
	v_mul_f64 v[142:143], v[36:37], s[14:15]
	v_add_f64 v[114:115], v[120:121], v[122:123]
	v_fma_f64 v[120:121], v[78:79], s[28:29], v[126:127]
	v_add_f64 v[84:85], v[0:1], v[84:85]
	v_add_f64 v[116:117], v[134:135], v[116:117]
	v_fma_f64 v[124:125], v[32:33], s[14:15], -v[124:125]
	v_fma_f64 v[132:133], v[30:31], s[16:17], -v[132:133]
	v_add_f64 v[122:123], v[140:141], v[138:139]
	v_fma_f64 v[138:139], v[28:29], s[18:19], v[142:143]
	v_mul_f64 v[140:141], v[94:95], s[14:15]
	v_add_f64 v[120:121], v[2:3], v[120:121]
	v_add_f64 v[74:75], v[84:85], v[74:75]
	v_fma_f64 v[126:127], v[68:69], s[24:25], -v[128:129]
	v_add_f64 v[112:113], v[124:125], v[112:113]
	v_mul_f64 v[124:125], v[40:41], s[36:37]
	v_mul_f64 v[134:135], v[34:35], s[22:23]
	v_add_f64 v[94:95], v[138:139], v[116:117]
	v_mul_f64 v[84:85], v[86:87], s[18:19]
	v_add_f64 v[116:117], v[118:119], v[120:121]
	v_add_f64 v[120:121], v[2:3], v[92:93]
	;; [unrolled: 1-line block ×4, first 2 shown]
	v_fma_f64 v[128:129], v[32:33], s[30:31], v[124:125]
	v_fma_f64 v[132:133], v[62:63], s[16:17], -v[144:145]
	v_add_f64 v[126:127], v[0:1], v[126:127]
	v_fma_f64 v[118:119], v[58:59], s[6:7], v[136:137]
	v_mul_f64 v[90:91], v[90:91], s[24:25]
	v_add_f64 v[82:83], v[120:121], v[82:83]
	v_add_f64 v[56:57], v[72:73], v[56:57]
	v_fma_f64 v[74:75], v[68:69], s[14:15], v[84:85]
	v_add_f64 v[122:123], v[128:129], v[122:123]
	v_fma_f64 v[128:129], v[30:31], s[14:15], v[134:135]
	v_add_f64 v[126:127], v[132:133], v[126:127]
	v_fma_f64 v[132:133], v[42:43], s[0:1], -v[146:147]
	v_mul_f64 v[70:71], v[70:71], s[28:29]
	v_add_f64 v[76:77], v[82:83], v[76:77]
	v_add_f64 v[54:55], v[56:57], v[54:55]
	v_fma_f64 v[68:69], v[68:69], s[14:15], -v[84:85]
	v_add_f64 v[116:117], v[118:119], v[116:117]
	v_add_f64 v[92:93], v[128:129], v[122:123]
	v_fma_f64 v[122:123], v[78:79], s[22:23], v[140:141]
	v_fma_f64 v[78:79], v[78:79], s[18:19], v[140:141]
	;; [unrolled: 1-line block ×3, first 2 shown]
	v_add_f64 v[66:67], v[76:77], v[66:67]
	v_add_f64 v[50:51], v[54:55], v[50:51]
	;; [unrolled: 1-line block ×3, first 2 shown]
	v_fma_f64 v[126:127], v[60:61], s[38:39], v[90:91]
	v_mul_f64 v[82:83], v[88:89], s[30:31]
	v_add_f64 v[122:123], v[2:3], v[122:123]
	v_add_f64 v[72:73], v[0:1], v[74:75]
	v_fma_f64 v[84:85], v[62:63], s[24:25], v[70:71]
	v_add_f64 v[52:53], v[66:67], v[52:53]
	v_add_f64 v[2:3], v[2:3], v[78:79]
	v_mul_f64 v[56:57], v[64:65], s[34:35]
	v_add_f64 v[0:1], v[0:1], v[68:69]
	v_fma_f64 v[60:61], v[60:61], s[28:29], v[90:91]
	v_fma_f64 v[62:63], v[62:63], s[24:25], -v[70:71]
	v_add_f64 v[24:25], v[50:51], v[24:25]
	v_add_f64 v[86:87], v[118:119], v[116:117]
	;; [unrolled: 1-line block ×4, first 2 shown]
	v_fma_f64 v[76:77], v[58:59], s[36:37], v[82:83]
	v_mul_f64 v[80:81], v[80:81], s[16:17]
	v_fma_f64 v[52:53], v[42:43], s[30:31], v[56:57]
	v_fma_f64 v[54:55], v[58:59], s[34:35], v[82:83]
	v_add_f64 v[2:3], v[60:61], v[2:3]
	v_fma_f64 v[42:43], v[42:43], s[30:31], -v[56:57]
	v_add_f64 v[26:27], v[48:49], v[26:27]
	v_mul_f64 v[40:41], v[40:41], s[20:21]
	v_add_f64 v[0:1], v[62:63], v[0:1]
	v_add_f64 v[66:67], v[84:85], v[72:73]
	;; [unrolled: 1-line block ×4, first 2 shown]
	v_fma_f64 v[76:77], v[38:39], s[26:27], v[80:81]
	v_fma_f64 v[38:39], v[38:39], s[20:21], v[80:81]
	v_add_f64 v[20:21], v[26:27], v[20:21]
	v_mul_f64 v[36:37], v[36:37], s[0:1]
	v_add_f64 v[2:3], v[54:55], v[2:3]
	v_fma_f64 v[50:51], v[32:33], s[16:17], -v[40:41]
	v_add_f64 v[0:1], v[42:43], v[0:1]
	v_mul_f64 v[24:25], v[34:35], s[8:9]
	v_fma_f64 v[124:125], v[32:33], s[30:31], -v[124:125]
	v_add_f64 v[48:49], v[52:53], v[66:67]
	v_fma_f64 v[26:27], v[32:33], s[16:17], v[40:41]
	v_add_f64 v[20:21], v[20:21], v[16:17]
	v_add_f64 v[18:19], v[22:23], v[18:19]
	v_fma_f64 v[118:119], v[28:29], s[22:23], v[142:143]
	v_fma_f64 v[32:33], v[28:29], s[6:7], v[36:37]
	;; [unrolled: 1-line block ×3, first 2 shown]
	v_add_f64 v[34:35], v[38:39], v[2:3]
	v_add_f64 v[36:37], v[50:51], v[0:1]
	v_fma_f64 v[22:23], v[30:31], s[0:1], -v[24:25]
	v_add_f64 v[88:89], v[124:125], v[120:121]
	v_fma_f64 v[120:121], v[30:31], s[14:15], -v[134:135]
	v_add_f64 v[64:65], v[76:77], v[74:75]
	v_fma_f64 v[30:31], v[30:31], s[0:1], v[24:25]
	v_add_f64 v[26:27], v[26:27], v[48:49]
	v_add_f64 v[20:21], v[20:21], v[12:13]
	;; [unrolled: 1-line block ×7, first 2 shown]
	v_lshrrev_b32_e32 v12, 2, v96
	v_mul_u32_u24_e32 v12, 44, v12
	v_or_b32_e32 v12, v12, v99
	v_lshl_add_u32 v12, v12, 4, 0
	v_add_f64 v[24:25], v[32:33], v[64:65]
	v_add_f64 v[22:23], v[30:31], v[26:27]
	ds_write_b128 v12, v[18:21]
	ds_write_b128 v12, v[14:17] offset:64
	ds_write_b128 v12, v[0:3] offset:128
	;; [unrolled: 1-line block ×10, first 2 shown]
.LBB0_17:
	s_or_b64 exec, exec, s[4:5]
	s_movk_i32 s0, 0xbb
	v_mul_lo_u16_sdwa v0, v96, s0 dst_sel:DWORD dst_unused:UNUSED_PAD src0_sel:BYTE_0 src1_sel:DWORD
	v_lshrrev_b16_e32 v92, 13, v0
	v_mul_lo_u16_e32 v0, 44, v92
	v_sub_u16_e32 v93, v96, v0
	v_mov_b32_e32 v16, 6
	v_lshlrev_b32_sdwa v17, v16, v93 dst_sel:DWORD dst_unused:UNUSED_PAD src0_sel:DWORD src1_sel:BYTE_0
	s_waitcnt lgkmcnt(0)
	s_barrier
	global_load_dwordx4 v[0:3], v17, s[12:13] offset:688
	global_load_dwordx4 v[4:7], v17, s[12:13] offset:672
	;; [unrolled: 1-line block ×4, first 2 shown]
	v_mul_lo_u16_sdwa v17, v97, s0 dst_sel:DWORD dst_unused:UNUSED_PAD src0_sel:BYTE_0 src1_sel:DWORD
	v_lshrrev_b16_e32 v94, 13, v17
	v_mul_lo_u16_e32 v17, 44, v94
	v_sub_u16_e32 v95, v97, v17
	v_lshlrev_b32_sdwa v32, v16, v95 dst_sel:DWORD dst_unused:UNUSED_PAD src0_sel:DWORD src1_sel:BYTE_0
	global_load_dwordx4 v[16:19], v32, s[12:13] offset:672
	global_load_dwordx4 v[20:23], v32, s[12:13] offset:688
	;; [unrolled: 1-line block ×4, first 2 shown]
	ds_read_b128 v[32:35], v98
	ds_read_b128 v[36:39], v98 offset:1760
	ds_read_b128 v[40:43], v98 offset:3520
	;; [unrolled: 1-line block ×9, first 2 shown]
	s_mov_b32 s6, 0x134454ff
	s_mov_b32 s7, 0x3fee6f0e
	;; [unrolled: 1-line block ×10, first 2 shown]
	s_waitcnt vmcnt(0) lgkmcnt(0)
	s_barrier
	v_mul_f64 v[78:79], v[54:55], v[2:3]
	v_mul_f64 v[76:77], v[42:43], v[6:7]
	;; [unrolled: 1-line block ×15, first 2 shown]
	v_fma_f64 v[40:41], v[40:41], v[4:5], -v[76:77]
	v_fma_f64 v[4:5], v[42:43], v[4:5], v[6:7]
	v_fma_f64 v[6:7], v[52:53], v[0:1], -v[78:79]
	v_fma_f64 v[0:1], v[54:55], v[0:1], v[2:3]
	;; [unrolled: 2-line block ×3, first 2 shown]
	v_fma_f64 v[14:15], v[68:69], v[8:9], -v[82:83]
	v_mul_f64 v[22:23], v[56:57], v[22:23]
	v_fma_f64 v[8:9], v[70:71], v[8:9], v[10:11]
	v_fma_f64 v[42:43], v[48:49], v[16:17], -v[84:85]
	v_fma_f64 v[48:49], v[50:51], v[16:17], v[18:19]
	v_fma_f64 v[50:51], v[56:57], v[20:21], -v[86:87]
	v_fma_f64 v[52:53], v[64:65], v[24:25], -v[88:89]
	v_fma_f64 v[26:27], v[66:67], v[24:25], v[26:27]
	v_fma_f64 v[54:55], v[72:73], v[28:29], -v[90:91]
	v_fma_f64 v[30:31], v[74:75], v[28:29], v[30:31]
	v_add_f64 v[10:11], v[32:33], v[40:41]
	v_add_f64 v[16:17], v[6:7], v[2:3]
	v_add_f64 v[24:25], v[40:41], -v[6:7]
	v_add_f64 v[28:29], v[14:15], -v[2:3]
	v_add_f64 v[56:57], v[40:41], v[14:15]
	v_fma_f64 v[22:23], v[58:59], v[20:21], v[22:23]
	v_add_f64 v[18:19], v[4:5], -v[8:9]
	v_add_f64 v[20:21], v[0:1], -v[12:13]
	;; [unrolled: 1-line block ×4, first 2 shown]
	v_add_f64 v[62:63], v[34:35], v[4:5]
	v_add_f64 v[64:65], v[0:1], v[12:13]
	v_add_f64 v[66:67], v[6:7], -v[2:3]
	v_add_f64 v[68:69], v[4:5], -v[0:1]
	v_add_f64 v[72:73], v[4:5], v[8:9]
	v_add_f64 v[74:75], v[0:1], -v[4:5]
	v_add_f64 v[4:5], v[36:37], v[42:43]
	v_add_f64 v[6:7], v[10:11], v[6:7]
	v_fma_f64 v[10:11], v[16:17], -0.5, v[32:33]
	v_add_f64 v[16:17], v[24:25], v[28:29]
	v_fma_f64 v[24:25], v[56:57], -0.5, v[32:33]
	v_add_f64 v[40:41], v[40:41], -v[14:15]
	v_add_f64 v[78:79], v[50:51], v[52:53]
	v_add_f64 v[28:29], v[58:59], v[60:61]
	;; [unrolled: 1-line block ×3, first 2 shown]
	v_fma_f64 v[32:33], v[64:65], -0.5, v[34:35]
	v_fma_f64 v[34:35], v[72:73], -0.5, v[34:35]
	v_add_f64 v[58:59], v[4:5], v[50:51]
	v_add_f64 v[2:3], v[6:7], v[2:3]
	v_fma_f64 v[4:5], v[18:19], s[6:7], v[10:11]
	v_fma_f64 v[6:7], v[18:19], s[14:15], v[10:11]
	;; [unrolled: 1-line block ×4, first 2 shown]
	v_add_f64 v[70:71], v[8:9], -v[12:13]
	v_add_f64 v[76:77], v[12:13], -v[8:9]
	;; [unrolled: 1-line block ×3, first 2 shown]
	v_fma_f64 v[60:61], v[78:79], -0.5, v[36:37]
	v_add_f64 v[12:13], v[0:1], v[12:13]
	v_fma_f64 v[62:63], v[40:41], s[14:15], v[32:33]
	v_fma_f64 v[32:33], v[40:41], s[6:7], v[32:33]
	;; [unrolled: 1-line block ×4, first 2 shown]
	v_add_f64 v[0:1], v[2:3], v[14:15]
	v_fma_f64 v[4:5], v[20:21], s[4:5], v[4:5]
	v_fma_f64 v[6:7], v[20:21], s[8:9], v[6:7]
	;; [unrolled: 1-line block ×4, first 2 shown]
	v_add_f64 v[82:83], v[22:23], -v[26:27]
	v_add_f64 v[84:85], v[42:43], -v[50:51]
	;; [unrolled: 1-line block ×3, first 2 shown]
	v_add_f64 v[56:57], v[68:69], v[70:71]
	v_fma_f64 v[68:69], v[80:81], s[6:7], v[60:61]
	v_add_f64 v[2:3], v[12:13], v[8:9]
	v_fma_f64 v[18:19], v[66:67], s[8:9], v[62:63]
	v_fma_f64 v[20:21], v[66:67], s[4:5], v[32:33]
	;; [unrolled: 1-line block ×7, first 2 shown]
	v_add_f64 v[28:29], v[74:75], v[76:77]
	v_fma_f64 v[32:33], v[40:41], s[4:5], v[34:35]
	v_add_f64 v[34:35], v[58:59], v[52:53]
	v_fma_f64 v[40:41], v[82:83], s[4:5], v[68:69]
	;; [unrolled: 2-line block ×4, first 2 shown]
	v_fma_f64 v[14:15], v[28:29], s[0:1], v[24:25]
	v_fma_f64 v[18:19], v[28:29], s[0:1], v[32:33]
	v_add_f64 v[28:29], v[22:23], v[26:27]
	v_add_f64 v[56:57], v[48:49], v[30:31]
	;; [unrolled: 1-line block ×3, first 2 shown]
	v_fma_f64 v[24:25], v[58:59], s[0:1], v[40:41]
	v_fma_f64 v[32:33], v[80:81], s[14:15], v[60:61]
	v_add_f64 v[40:41], v[50:51], -v[42:43]
	v_add_f64 v[60:61], v[52:53], -v[54:55]
	v_add_f64 v[42:43], v[42:43], -v[54:55]
	v_fma_f64 v[28:29], v[28:29], -0.5, v[38:39]
	v_fma_f64 v[36:37], v[88:89], -0.5, v[36:37]
	v_add_f64 v[50:51], v[50:51], -v[52:53]
	v_fma_f64 v[38:39], v[56:57], -0.5, v[38:39]
	v_add_f64 v[52:53], v[62:63], v[22:23]
	v_add_f64 v[20:21], v[34:35], v[54:55]
	;; [unrolled: 1-line block ×3, first 2 shown]
	v_add_f64 v[56:57], v[48:49], -v[22:23]
	v_fma_f64 v[54:55], v[42:43], s[14:15], v[28:29]
	v_add_f64 v[60:61], v[30:31], -v[26:27]
	v_fma_f64 v[34:35], v[82:83], s[14:15], v[36:37]
	v_fma_f64 v[62:63], v[50:51], s[6:7], v[38:39]
	v_add_f64 v[22:23], v[22:23], -v[48:49]
	v_add_f64 v[48:49], v[26:27], -v[30:31]
	v_fma_f64 v[36:37], v[82:83], s[6:7], v[36:37]
	v_fma_f64 v[38:39], v[50:51], s[14:15], v[38:39]
	;; [unrolled: 1-line block ×3, first 2 shown]
	v_add_f64 v[26:27], v[52:53], v[26:27]
	v_fma_f64 v[52:53], v[50:51], s[8:9], v[54:55]
	v_add_f64 v[54:55], v[56:57], v[60:61]
	v_fma_f64 v[32:33], v[82:83], s[8:9], v[32:33]
	v_fma_f64 v[34:35], v[80:81], s[4:5], v[34:35]
	v_fma_f64 v[56:57], v[42:43], s[8:9], v[62:63]
	v_add_f64 v[48:49], v[22:23], v[48:49]
	v_fma_f64 v[36:37], v[80:81], s[8:9], v[36:37]
	v_fma_f64 v[38:39], v[42:43], s[4:5], v[38:39]
	v_fma_f64 v[50:51], v[50:51], s[4:5], v[28:29]
	v_add_f64 v[22:23], v[26:27], v[30:31]
	v_fma_f64 v[26:27], v[54:55], s[0:1], v[52:53]
	v_fma_f64 v[28:29], v[58:59], s[0:1], v[32:33]
	v_fma_f64 v[32:33], v[40:41], s[0:1], v[34:35]
	v_fma_f64 v[34:35], v[48:49], s[0:1], v[56:57]
	;; [unrolled: 1-line block ×4, first 2 shown]
	v_mov_b32_e32 v41, 4
	v_fma_f64 v[30:31], v[54:55], s[0:1], v[50:51]
	v_mul_u32_u24_e32 v40, 0xdc0, v92
	v_lshlrev_b32_sdwa v42, v41, v93 dst_sel:DWORD dst_unused:UNUSED_PAD src0_sel:DWORD src1_sel:BYTE_0
	v_add3_u32 v40, 0, v40, v42
	ds_write_b128 v40, v[0:3]
	ds_write_b128 v40, v[4:7] offset:704
	ds_write_b128 v40, v[12:15] offset:1408
	;; [unrolled: 1-line block ×4, first 2 shown]
	v_mul_u32_u24_e32 v0, 0xdc0, v94
	v_lshlrev_b32_sdwa v1, v41, v95 dst_sel:DWORD dst_unused:UNUSED_PAD src0_sel:DWORD src1_sel:BYTE_0
	v_add3_u32 v0, 0, v0, v1
	ds_write_b128 v0, v[20:23]
	ds_write_b128 v0, v[24:27] offset:704
	ds_write_b128 v0, v[32:35] offset:1408
	ds_write_b128 v0, v[36:39] offset:2112
	ds_write_b128 v0, v[28:31] offset:2816
	s_waitcnt lgkmcnt(0)
	s_barrier
	s_and_saveexec_b64 s[16:17], vcc
	s_cbranch_execz .LBB0_19
; %bb.18:
	v_lshlrev_b32_e32 v0, 2, v97
	v_mov_b32_e32 v1, 0
	v_lshlrev_b64 v[2:3], 4, v[0:1]
	v_mov_b32_e32 v20, s13
	v_add_co_u32_e32 v18, vcc, s12, v2
	v_addc_co_u32_e32 v19, vcc, v20, v3, vcc
	global_load_dwordx4 v[2:5], v[18:19], off offset:3536
	global_load_dwordx4 v[6:9], v[18:19], off offset:3520
	;; [unrolled: 1-line block ×4, first 2 shown]
	v_lshlrev_b32_e32 v0, 2, v96
	v_lshlrev_b64 v[18:19], 4, v[0:1]
	v_mul_lo_u32 v0, s3, v46
	v_add_co_u32_e32 v34, vcc, s12, v18
	v_addc_co_u32_e32 v35, vcc, v20, v19, vcc
	global_load_dwordx4 v[18:21], v[34:35], off offset:3504
	global_load_dwordx4 v[22:25], v[34:35], off offset:3488
	;; [unrolled: 1-line block ×4, first 2 shown]
	v_mul_lo_u32 v78, s2, v47
	v_mad_u64_u32 v[42:43], s[2:3], s2, v46, 0
	ds_read_b128 v[34:37], v98 offset:8800
	ds_read_b128 v[38:41], v98 offset:7040
	;; [unrolled: 1-line block ×9, first 2 shown]
	ds_read_b128 v[74:77], v98
	s_mov_b32 s2, 0x94f2095
	v_add3_u32 v43, v43, v78, v0
	v_lshrrev_b32_e32 v0, 2, v96
	v_mul_hi_u32 v0, v0, s2
	s_movk_i32 s3, 0xdc
	v_lshlrev_b64 v[42:43], 4, v[42:43]
	v_lshrrev_b32_e32 v0, 1, v0
	v_mul_lo_u32 v0, v0, s3
	v_sub_u32_e32 v0, v96, v0
	v_lshlrev_b32_e32 v0, 4, v0
	s_waitcnt vmcnt(7) lgkmcnt(3)
	v_mul_f64 v[84:85], v[2:3], v[64:65]
	s_waitcnt vmcnt(6)
	v_mul_f64 v[82:83], v[6:7], v[56:57]
	s_waitcnt vmcnt(5)
	;; [unrolled: 2-line block ×3, first 2 shown]
	v_mul_f64 v[80:81], v[14:15], v[48:49]
	v_mul_f64 v[48:49], v[16:17], v[48:49]
	;; [unrolled: 1-line block ×5, first 2 shown]
	s_waitcnt vmcnt(3)
	v_mul_f64 v[86:87], v[18:19], v[40:41]
	s_waitcnt vmcnt(2)
	v_mul_f64 v[88:89], v[22:23], v[52:53]
	;; [unrolled: 2-line block ×3, first 2 shown]
	s_waitcnt vmcnt(0) lgkmcnt(2)
	v_mul_f64 v[92:93], v[30:31], v[68:69]
	v_mul_f64 v[52:53], v[24:25], v[52:53]
	;; [unrolled: 1-line block ×5, first 2 shown]
	v_fma_f64 v[12:13], v[12:13], v[34:35], v[78:79]
	v_fma_f64 v[16:17], v[16:17], v[46:47], v[80:81]
	;; [unrolled: 1-line block ×4, first 2 shown]
	v_fma_f64 v[14:15], v[46:47], v[14:15], -v[48:49]
	v_fma_f64 v[2:3], v[62:63], v[2:3], -v[64:65]
	v_fma_f64 v[10:11], v[34:35], v[10:11], -v[36:37]
	v_fma_f64 v[6:7], v[54:55], v[6:7], -v[56:57]
	v_fma_f64 v[34:35], v[20:21], v[38:39], v[86:87]
	v_fma_f64 v[46:47], v[24:25], v[50:51], v[88:89]
	v_fma_f64 v[48:49], v[28:29], v[58:59], v[90:91]
	v_fma_f64 v[22:23], v[50:51], v[22:23], -v[52:53]
	v_fma_f64 v[50:51], v[66:67], v[30:31], -v[68:69]
	v_fma_f64 v[30:31], v[38:39], v[18:19], -v[40:41]
	v_fma_f64 v[26:27], v[58:59], v[26:27], -v[60:61]
	v_add_f64 v[18:19], v[12:13], -v[16:17]
	v_add_f64 v[20:21], v[8:9], -v[4:5]
	v_add_f64 v[28:29], v[16:17], v[4:5]
	v_add_f64 v[36:37], v[16:17], -v[12:13]
	v_add_f64 v[38:39], v[4:5], -v[8:9]
	v_add_f64 v[40:41], v[12:13], v[8:9]
	s_waitcnt lgkmcnt(1)
	v_add_f64 v[52:53], v[16:17], v[72:73]
	v_add_f64 v[56:57], v[10:11], -v[14:15]
	v_add_f64 v[58:59], v[6:7], -v[2:3]
	v_add_f64 v[62:63], v[14:15], v[2:3]
	v_add_f64 v[68:69], v[10:11], v[6:7]
	v_fma_f64 v[54:55], v[32:33], v[66:67], v[92:93]
	v_add_f64 v[24:25], v[14:15], -v[2:3]
	v_add_f64 v[32:33], v[10:11], -v[6:7]
	;; [unrolled: 1-line block ×6, first 2 shown]
	v_add_f64 v[14:15], v[14:15], v[70:71]
	v_add_f64 v[18:19], v[18:19], v[20:21]
	v_fma_f64 v[20:21], v[28:29], -0.5, v[72:73]
	v_add_f64 v[28:29], v[36:37], v[38:39]
	v_fma_f64 v[36:37], v[40:41], -0.5, v[72:73]
	v_add_f64 v[12:13], v[12:13], v[52:53]
	v_add_f64 v[38:39], v[56:57], v[58:59]
	v_fma_f64 v[40:41], v[62:63], -0.5, v[70:71]
	v_fma_f64 v[56:57], v[68:69], -0.5, v[70:71]
	v_add_f64 v[84:85], v[46:47], v[54:55]
	v_add_f64 v[88:89], v[34:35], v[48:49]
	v_add_f64 v[52:53], v[64:65], v[66:67]
	v_add_f64 v[10:11], v[10:11], v[14:15]
	v_fma_f64 v[14:15], v[32:33], s[14:15], v[20:21]
	v_fma_f64 v[20:21], v[32:33], s[6:7], v[20:21]
	;; [unrolled: 1-line block ×4, first 2 shown]
	v_add_f64 v[8:9], v[8:9], v[12:13]
	v_fma_f64 v[12:13], v[60:61], s[6:7], v[40:41]
	v_fma_f64 v[40:41], v[60:61], s[14:15], v[40:41]
	;; [unrolled: 1-line block ×4, first 2 shown]
	v_add_f64 v[86:87], v[30:31], -v[26:27]
	s_waitcnt lgkmcnt(0)
	v_fma_f64 v[58:59], v[84:85], -0.5, v[76:77]
	v_add_f64 v[82:83], v[22:23], -v[50:51]
	v_fma_f64 v[62:63], v[88:89], -0.5, v[76:77]
	v_add_f64 v[68:69], v[6:7], v[10:11]
	v_fma_f64 v[6:7], v[24:25], s[4:5], v[14:15]
	v_fma_f64 v[10:11], v[24:25], s[8:9], v[20:21]
	;; [unrolled: 1-line block ×7, first 2 shown]
	v_add_f64 v[78:79], v[34:35], -v[46:47]
	v_add_f64 v[80:81], v[48:49], -v[54:55]
	v_fma_f64 v[70:71], v[86:87], s[14:15], v[58:59]
	v_fma_f64 v[36:37], v[60:61], s[8:9], v[66:67]
	v_add_f64 v[4:5], v[4:5], v[8:9]
	v_fma_f64 v[8:9], v[18:19], s[0:1], v[6:7]
	v_fma_f64 v[12:13], v[18:19], s[0:1], v[10:11]
	;; [unrolled: 1-line block ×8, first 2 shown]
	v_add_f64 v[28:29], v[46:47], -v[34:35]
	v_add_f64 v[32:33], v[54:55], -v[48:49]
	v_fma_f64 v[38:39], v[82:83], s[6:7], v[62:63]
	v_fma_f64 v[40:41], v[82:83], s[14:15], v[62:63]
	;; [unrolled: 1-line block ×3, first 2 shown]
	v_add_f64 v[36:37], v[78:79], v[80:81]
	v_fma_f64 v[56:57], v[82:83], s[4:5], v[70:71]
	v_add_f64 v[52:53], v[46:47], v[76:77]
	v_fma_f64 v[58:59], v[82:83], s[8:9], v[24:25]
	v_add_f64 v[60:61], v[28:29], v[32:33]
	v_add_f64 v[32:33], v[22:23], v[50:51]
	v_fma_f64 v[38:39], v[86:87], s[4:5], v[38:39]
	v_fma_f64 v[40:41], v[86:87], s[8:9], v[40:41]
	v_add_f64 v[46:47], v[46:47], -v[54:55]
	v_fma_f64 v[24:25], v[36:37], s[0:1], v[56:57]
	v_add_f64 v[56:57], v[30:31], v[26:27]
	v_add_f64 v[52:53], v[34:35], v[52:53]
	v_fma_f64 v[28:29], v[36:37], s[0:1], v[58:59]
	v_add_f64 v[34:35], v[34:35], -v[48:49]
	v_fma_f64 v[58:59], v[32:33], -0.5, v[74:75]
	v_fma_f64 v[32:33], v[60:61], s[0:1], v[38:39]
	v_fma_f64 v[36:37], v[60:61], s[0:1], v[40:41]
	v_add_f64 v[60:61], v[22:23], v[74:75]
	v_fma_f64 v[40:41], v[56:57], -0.5, v[74:75]
	v_add_f64 v[38:39], v[48:49], v[52:53]
	v_add_f64 v[48:49], v[30:31], -v[22:23]
	v_add_f64 v[52:53], v[26:27], -v[50:51]
	v_fma_f64 v[56:57], v[34:35], s[6:7], v[58:59]
	v_fma_f64 v[58:59], v[34:35], s[14:15], v[58:59]
	v_add_f64 v[22:23], v[22:23], -v[30:31]
	v_add_f64 v[30:31], v[30:31], v[60:61]
	v_add_f64 v[62:63], v[50:51], -v[26:27]
	v_fma_f64 v[64:65], v[46:47], s[14:15], v[40:41]
	v_fma_f64 v[66:67], v[46:47], s[6:7], v[40:41]
	v_add_f64 v[40:41], v[54:55], v[38:39]
	v_add_f64 v[38:39], v[48:49], v[52:53]
	v_fma_f64 v[48:49], v[46:47], s[8:9], v[56:57]
	v_fma_f64 v[46:47], v[46:47], s[4:5], v[58:59]
	v_add_f64 v[56:57], v[26:27], v[30:31]
	v_add_f64 v[52:53], v[22:23], v[62:63]
	v_fma_f64 v[54:55], v[34:35], s[8:9], v[64:65]
	v_fma_f64 v[34:35], v[34:35], s[4:5], v[66:67]
	v_add_f64 v[2:3], v[2:3], v[68:69]
	v_fma_f64 v[22:23], v[38:39], s[0:1], v[48:49]
	v_fma_f64 v[26:27], v[38:39], s[0:1], v[46:47]
	v_add_f64 v[38:39], v[50:51], v[56:57]
	v_mov_b32_e32 v46, s11
	v_add_co_u32_e32 v47, vcc, s10, v42
	v_fma_f64 v[34:35], v[52:53], s[0:1], v[34:35]
	v_addc_co_u32_e32 v46, vcc, v46, v43, vcc
	v_lshlrev_b64 v[42:43], 4, v[44:45]
	v_fma_f64 v[30:31], v[52:53], s[0:1], v[54:55]
	v_add_co_u32_e32 v44, vcc, v47, v42
	v_addc_co_u32_e32 v45, vcc, v46, v43, vcc
	v_add_co_u32_e32 v42, vcc, v44, v0
	v_addc_co_u32_e32 v43, vcc, 0, v45, vcc
	v_add_u32_e32 v0, 0x6e, v96
	global_store_dwordx4 v[42:43], v[38:41], off
	global_store_dwordx4 v[42:43], v[34:37], off offset:3520
	s_movk_i32 s0, 0x1000
	v_lshrrev_b32_e32 v34, 2, v0
	v_mul_hi_u32 v36, v34, s2
	v_add_co_u32_e32 v34, vcc, s0, v42
	v_addc_co_u32_e32 v35, vcc, 0, v43, vcc
	global_store_dwordx4 v[34:35], v[26:29], off offset:2944
	s_movk_i32 s0, 0x2000
	v_lshrrev_b32_e32 v28, 1, v36
	v_mul_lo_u32 v29, v28, s3
	v_add_co_u32_e32 v26, vcc, s0, v42
	v_addc_co_u32_e32 v27, vcc, 0, v43, vcc
	v_sub_u32_e32 v0, v0, v29
	s_movk_i32 s0, 0x44c
	global_store_dwordx4 v[26:27], v[22:25], off offset:2368
	s_movk_i32 s2, 0x3000
	v_mad_u64_u32 v[22:23], s[0:1], v28, s0, v[0:1]
	v_add_co_u32_e32 v23, vcc, s2, v42
	v_addc_co_u32_e32 v24, vcc, 0, v43, vcc
	global_store_dwordx4 v[23:24], v[30:33], off offset:1792
	v_mov_b32_e32 v23, v1
	v_lshlrev_b64 v[23:24], 4, v[22:23]
	v_add_u32_e32 v0, 0xdc, v22
	v_add_co_u32_e32 v23, vcc, v44, v23
	v_addc_co_u32_e32 v24, vcc, v45, v24, vcc
	global_store_dwordx4 v[23:24], v[2:5], off
	s_nop 0
	v_lshlrev_b64 v[2:3], 4, v[0:1]
	v_add_u32_e32 v0, 0x1b8, v22
	v_add_co_u32_e32 v2, vcc, v44, v2
	v_addc_co_u32_e32 v3, vcc, v45, v3, vcc
	global_store_dwordx4 v[2:3], v[18:21], off
	v_lshlrev_b64 v[2:3], 4, v[0:1]
	v_add_u32_e32 v0, 0x294, v22
	v_add_co_u32_e32 v2, vcc, v44, v2
	v_addc_co_u32_e32 v3, vcc, v45, v3, vcc
	global_store_dwordx4 v[2:3], v[10:13], off
	v_lshlrev_b64 v[2:3], 4, v[0:1]
	v_add_u32_e32 v0, 0x370, v22
	v_add_co_u32_e32 v2, vcc, v44, v2
	v_lshlrev_b64 v[0:1], 4, v[0:1]
	v_addc_co_u32_e32 v3, vcc, v45, v3, vcc
	v_add_co_u32_e32 v0, vcc, v44, v0
	v_addc_co_u32_e32 v1, vcc, v45, v1, vcc
	global_store_dwordx4 v[2:3], v[6:9], off
	global_store_dwordx4 v[0:1], v[14:17], off
.LBB0_19:
	s_endpgm
	.section	.rodata,"a",@progbits
	.p2align	6, 0x0
	.amdhsa_kernel fft_rtc_fwd_len1100_factors_2_2_11_5_5_wgs_110_tpt_110_dp_op_CI_CI_unitstride_sbrr_dirReg
		.amdhsa_group_segment_fixed_size 0
		.amdhsa_private_segment_fixed_size 0
		.amdhsa_kernarg_size 104
		.amdhsa_user_sgpr_count 6
		.amdhsa_user_sgpr_private_segment_buffer 1
		.amdhsa_user_sgpr_dispatch_ptr 0
		.amdhsa_user_sgpr_queue_ptr 0
		.amdhsa_user_sgpr_kernarg_segment_ptr 1
		.amdhsa_user_sgpr_dispatch_id 0
		.amdhsa_user_sgpr_flat_scratch_init 0
		.amdhsa_user_sgpr_private_segment_size 0
		.amdhsa_uses_dynamic_stack 0
		.amdhsa_system_sgpr_private_segment_wavefront_offset 0
		.amdhsa_system_sgpr_workgroup_id_x 1
		.amdhsa_system_sgpr_workgroup_id_y 0
		.amdhsa_system_sgpr_workgroup_id_z 0
		.amdhsa_system_sgpr_workgroup_info 0
		.amdhsa_system_vgpr_workitem_id 0
		.amdhsa_next_free_vgpr 148
		.amdhsa_next_free_sgpr 40
		.amdhsa_reserve_vcc 1
		.amdhsa_reserve_flat_scratch 0
		.amdhsa_float_round_mode_32 0
		.amdhsa_float_round_mode_16_64 0
		.amdhsa_float_denorm_mode_32 3
		.amdhsa_float_denorm_mode_16_64 3
		.amdhsa_dx10_clamp 1
		.amdhsa_ieee_mode 1
		.amdhsa_fp16_overflow 0
		.amdhsa_exception_fp_ieee_invalid_op 0
		.amdhsa_exception_fp_denorm_src 0
		.amdhsa_exception_fp_ieee_div_zero 0
		.amdhsa_exception_fp_ieee_overflow 0
		.amdhsa_exception_fp_ieee_underflow 0
		.amdhsa_exception_fp_ieee_inexact 0
		.amdhsa_exception_int_div_zero 0
	.end_amdhsa_kernel
	.text
.Lfunc_end0:
	.size	fft_rtc_fwd_len1100_factors_2_2_11_5_5_wgs_110_tpt_110_dp_op_CI_CI_unitstride_sbrr_dirReg, .Lfunc_end0-fft_rtc_fwd_len1100_factors_2_2_11_5_5_wgs_110_tpt_110_dp_op_CI_CI_unitstride_sbrr_dirReg
                                        ; -- End function
	.section	.AMDGPU.csdata,"",@progbits
; Kernel info:
; codeLenInByte = 9060
; NumSgprs: 44
; NumVgprs: 148
; ScratchSize: 0
; MemoryBound: 1
; FloatMode: 240
; IeeeMode: 1
; LDSByteSize: 0 bytes/workgroup (compile time only)
; SGPRBlocks: 5
; VGPRBlocks: 36
; NumSGPRsForWavesPerEU: 44
; NumVGPRsForWavesPerEU: 148
; Occupancy: 1
; WaveLimiterHint : 1
; COMPUTE_PGM_RSRC2:SCRATCH_EN: 0
; COMPUTE_PGM_RSRC2:USER_SGPR: 6
; COMPUTE_PGM_RSRC2:TRAP_HANDLER: 0
; COMPUTE_PGM_RSRC2:TGID_X_EN: 1
; COMPUTE_PGM_RSRC2:TGID_Y_EN: 0
; COMPUTE_PGM_RSRC2:TGID_Z_EN: 0
; COMPUTE_PGM_RSRC2:TIDIG_COMP_CNT: 0
	.type	__hip_cuid_fa3a4ed41d93b820,@object ; @__hip_cuid_fa3a4ed41d93b820
	.section	.bss,"aw",@nobits
	.globl	__hip_cuid_fa3a4ed41d93b820
__hip_cuid_fa3a4ed41d93b820:
	.byte	0                               ; 0x0
	.size	__hip_cuid_fa3a4ed41d93b820, 1

	.ident	"AMD clang version 19.0.0git (https://github.com/RadeonOpenCompute/llvm-project roc-6.4.0 25133 c7fe45cf4b819c5991fe208aaa96edf142730f1d)"
	.section	".note.GNU-stack","",@progbits
	.addrsig
	.addrsig_sym __hip_cuid_fa3a4ed41d93b820
	.amdgpu_metadata
---
amdhsa.kernels:
  - .args:
      - .actual_access:  read_only
        .address_space:  global
        .offset:         0
        .size:           8
        .value_kind:     global_buffer
      - .offset:         8
        .size:           8
        .value_kind:     by_value
      - .actual_access:  read_only
        .address_space:  global
        .offset:         16
        .size:           8
        .value_kind:     global_buffer
      - .actual_access:  read_only
        .address_space:  global
        .offset:         24
        .size:           8
        .value_kind:     global_buffer
      - .actual_access:  read_only
        .address_space:  global
        .offset:         32
        .size:           8
        .value_kind:     global_buffer
      - .offset:         40
        .size:           8
        .value_kind:     by_value
      - .actual_access:  read_only
        .address_space:  global
        .offset:         48
        .size:           8
        .value_kind:     global_buffer
      - .actual_access:  read_only
        .address_space:  global
        .offset:         56
        .size:           8
        .value_kind:     global_buffer
      - .offset:         64
        .size:           4
        .value_kind:     by_value
      - .actual_access:  read_only
        .address_space:  global
        .offset:         72
        .size:           8
        .value_kind:     global_buffer
      - .actual_access:  read_only
        .address_space:  global
        .offset:         80
        .size:           8
        .value_kind:     global_buffer
      - .actual_access:  read_only
        .address_space:  global
        .offset:         88
        .size:           8
        .value_kind:     global_buffer
      - .actual_access:  write_only
        .address_space:  global
        .offset:         96
        .size:           8
        .value_kind:     global_buffer
    .group_segment_fixed_size: 0
    .kernarg_segment_align: 8
    .kernarg_segment_size: 104
    .language:       OpenCL C
    .language_version:
      - 2
      - 0
    .max_flat_workgroup_size: 110
    .name:           fft_rtc_fwd_len1100_factors_2_2_11_5_5_wgs_110_tpt_110_dp_op_CI_CI_unitstride_sbrr_dirReg
    .private_segment_fixed_size: 0
    .sgpr_count:     44
    .sgpr_spill_count: 0
    .symbol:         fft_rtc_fwd_len1100_factors_2_2_11_5_5_wgs_110_tpt_110_dp_op_CI_CI_unitstride_sbrr_dirReg.kd
    .uniform_work_group_size: 1
    .uses_dynamic_stack: false
    .vgpr_count:     148
    .vgpr_spill_count: 0
    .wavefront_size: 64
amdhsa.target:   amdgcn-amd-amdhsa--gfx906
amdhsa.version:
  - 1
  - 2
...

	.end_amdgpu_metadata
